;; amdgpu-corpus repo=zjin-lcf/HeCBench kind=compiled arch=gfx906 opt=O3
	.amdgcn_target "amdgcn-amd-amdhsa--gfx906"
	.amdhsa_code_object_version 6
	.section	.text._Z9kQuantizeILi256ELi256EEvPKfS1_Phi,"axG",@progbits,_Z9kQuantizeILi256ELi256EEvPKfS1_Phi,comdat
	.protected	_Z9kQuantizeILi256ELi256EEvPKfS1_Phi ; -- Begin function _Z9kQuantizeILi256ELi256EEvPKfS1_Phi
	.globl	_Z9kQuantizeILi256ELi256EEvPKfS1_Phi
	.p2align	8
	.type	_Z9kQuantizeILi256ELi256EEvPKfS1_Phi,@function
_Z9kQuantizeILi256ELi256EEvPKfS1_Phi:   ; @_Z9kQuantizeILi256ELi256EEvPKfS1_Phi
; %bb.0:
	s_load_dwordx2 s[0:1], s[4:5], 0x8
	s_load_dword s7, s[4:5], 0x20
	s_add_u32 s8, s4, 32
	s_movk_i32 s2, 0x100
	s_addc_u32 s9, s5, 0
	v_cmp_gt_u32_e32 vcc, s2, v0
	v_lshlrev_b32_e32 v12, 2, v0
	s_and_saveexec_b64 s[2:3], vcc
	s_cbranch_execz .LBB0_3
; %bb.1:
	s_load_dword s10, s[8:9], 0xc
	s_load_dwordx2 s[12:13], s[4:5], 0x0
	s_mov_b64 s[8:9], 0
	v_mov_b32_e32 v3, v12
	v_mov_b32_e32 v4, v0
	s_waitcnt lgkmcnt(0)
	s_and_b32 s10, s10, 0xffff
	v_mov_b32_e32 v2, s13
	v_add_co_u32_e32 v1, vcc, s12, v12
	v_addc_co_u32_e32 v2, vcc, 0, v2, vcc
	s_lshl_b32 s11, s10, 2
	s_movk_i32 s12, 0xff
.LBB0_2:                                ; =>This Inner Loop Header: Depth=1
	global_load_dword v5, v[1:2], off
	v_add_co_u32_e32 v1, vcc, s11, v1
	v_add_u32_e32 v4, s10, v4
	v_addc_co_u32_e32 v2, vcc, 0, v2, vcc
	v_cmp_lt_u32_e32 vcc, s12, v4
	s_or_b64 s[8:9], vcc, s[8:9]
	s_waitcnt vmcnt(0)
	ds_write_b32 v3, v5
	v_add_u32_e32 v3, s11, v3
	s_andn2_b64 exec, exec, s[8:9]
	s_cbranch_execnz .LBB0_2
.LBB0_3:
	s_or_b64 exec, exec, s[2:3]
	s_load_dword s20, s[4:5], 0x18
	s_lshl_b32 s12, s6, 8
	s_waitcnt lgkmcnt(0)
	s_cmp_le_i32 s20, s12
	s_cbranch_scc1 .LBB0_62
; %bb.4:
	s_ashr_i32 s13, s12, 31
	s_load_dwordx2 s[2:3], s[4:5], 0x10
	s_lshl_b32 s14, s7, 8
	s_sub_i32 s21, s20, s12
	s_lshl_b64 s[4:5], s[12:13], 2
	s_add_u32 s0, s0, s4
	v_lshlrev_b32_e32 v0, 4, v0
	s_addc_u32 s1, s1, s5
	v_mov_b32_e32 v2, s1
	v_add_co_u32_e32 v0, vcc, s0, v0
	s_ashr_i32 s15, s14, 31
	v_addc_co_u32_e32 v2, vcc, 0, v2, vcc
	s_lshl_b64 s[16:17], s[14:15], 2
	v_add_co_u32_e32 v6, vcc, 8, v0
	s_waitcnt lgkmcnt(0)
	s_add_u32 s0, s2, s12
	v_addc_co_u32_e32 v7, vcc, 0, v2, vcc
	s_addc_u32 s1, s3, s13
	v_mov_b32_e32 v0, s1
	v_add_co_u32_e32 v2, vcc, s0, v12
	v_mov_b32_e32 v1, 0
	v_addc_co_u32_e32 v0, vcc, 0, v0, vcc
	v_add_co_u32_e32 v8, vcc, 1, v2
	v_mov_b32_e32 v2, v1
	v_mov_b32_e32 v3, v1
	;; [unrolled: 1-line block ×4, first 2 shown]
	v_or_b32_e32 v13, 2, v12
	v_or_b32_e32 v14, 3, v12
	v_addc_co_u32_e32 v9, vcc, 0, v0, vcc
	s_movk_i32 s13, 0xff
	v_mov_b32_e32 v0, 0x7f
	v_mov_b32_e32 v15, 0xbf
	v_not_b32_e32 v16, 31
	v_mov_b32_e32 v17, 0xff
	v_mov_b32_e32 v4, v3
	;; [unrolled: 1-line block ×4, first 2 shown]
	s_branch .LBB0_6
.LBB0_5:                                ;   in Loop: Header=BB0_6 Depth=1
	s_or_b64 exec, exec, s[0:1]
	v_mov_b32_e32 v10, s17
	v_add_co_u32_e32 v6, vcc, s16, v6
	v_addc_co_u32_e32 v7, vcc, v7, v10, vcc
	s_add_i32 s12, s12, s14
	s_sub_i32 s21, s21, s14
	v_mov_b32_e32 v10, s15
	v_add_co_u32_e32 v8, vcc, s14, v8
	s_cmp_ge_i32 s12, s20
	v_addc_co_u32_e32 v9, vcc, v9, v10, vcc
	s_cbranch_scc1 .LBB0_62
.LBB0_6:                                ; =>This Inner Loop Header: Depth=1
	s_min_i32 s6, s21, 0x100
	v_cmp_gt_u32_e32 vcc, s6, v12
	s_and_saveexec_b64 s[0:1], vcc
	s_cbranch_execz .LBB0_8
; %bb.7:                                ;   in Loop: Header=BB0_6 Depth=1
	global_load_dword v2, v[6:7], off offset:-8
.LBB0_8:                                ;   in Loop: Header=BB0_6 Depth=1
	s_or_b64 exec, exec, s[0:1]
	v_or_b32_e32 v10, 1, v12
	v_cmp_gt_i32_e64 s[0:1], s6, v10
	s_and_saveexec_b64 s[2:3], s[0:1]
	s_cbranch_execnz .LBB0_54
; %bb.9:                                ;   in Loop: Header=BB0_6 Depth=1
	s_or_b64 exec, exec, s[2:3]
	v_cmp_gt_i32_e64 s[2:3], s6, v13
	s_and_saveexec_b64 s[4:5], s[2:3]
	s_cbranch_execnz .LBB0_55
.LBB0_10:                               ;   in Loop: Header=BB0_6 Depth=1
	s_or_b64 exec, exec, s[4:5]
	v_cmp_gt_i32_e64 s[4:5], s6, v14
	s_and_saveexec_b64 s[6:7], s[4:5]
	s_cbranch_execz .LBB0_12
.LBB0_11:                               ;   in Loop: Header=BB0_6 Depth=1
	global_load_dword v5, v[6:7], off offset:4
.LBB0_12:                               ;   in Loop: Header=BB0_6 Depth=1
	s_or_b64 exec, exec, s[6:7]
	s_waitcnt vmcnt(0)
	s_barrier
	ds_read2_b32 v[10:11], v1 offset1:127
	v_mov_b32_e32 v27, -16
	s_waitcnt lgkmcnt(0)
	v_cmp_gt_f32_e64 s[6:7], v2, v11
	v_cndmask_b32_e64 v21, 63, v15, s[6:7]
	v_lshlrev_b32_e32 v19, 2, v21
	ds_read_b32 v22, v19
	v_cndmask_b32_e64 v18, 0, v0, s[6:7]
	v_cndmask_b32_e64 v20, -1.0, v11, s[6:7]
	s_waitcnt lgkmcnt(0)
	v_cmp_gt_f32_e64 s[8:9], v2, v22
	v_cndmask_b32_e64 v26, v16, 32, s[8:9]
	v_lshl_add_u32 v24, v26, 2, v19
	ds_read_b32 v19, v24
	v_cndmask_b32_e64 v23, v18, v21, s[8:9]
	ds_read_b32 v18, v1 offset:1020
	v_add_u32_e32 v26, v26, v21
	v_cndmask_b32_e64 v25, v20, v22, s[8:9]
	s_waitcnt lgkmcnt(1)
	v_cmp_gt_f32_e64 s[10:11], v2, v19
	v_mov_b32_e32 v20, v26
	s_and_saveexec_b64 s[18:19], s[10:11]
; %bb.13:                               ;   in Loop: Header=BB0_6 Depth=1
	v_cndmask_b32_e64 v20, v0, v17, s[6:7]
	v_cndmask_b32_e64 v20, v21, v20, s[8:9]
	v_cndmask_b32_e64 v21, v11, 1.0, s[6:7]
	v_cndmask_b32_e64 v21, v22, v21, s[8:9]
	v_mov_b32_e32 v27, 16
	v_mov_b32_e32 v23, v26
	v_mov_b32_e32 v25, v19
	v_mov_b32_e32 v19, v21
; %bb.14:                               ;   in Loop: Header=BB0_6 Depth=1
	s_or_b64 exec, exec, s[18:19]
	v_lshl_add_u32 v21, v27, 2, v24
	ds_read_b32 v28, v21
	v_add_u32_e32 v29, v27, v26
	v_mov_b32_e32 v27, -4
	s_waitcnt lgkmcnt(0)
	v_cmp_gt_f32_e64 s[6:7], v2, v28
	v_cndmask_b32_e64 v26, -8, 8, s[6:7]
	v_lshl_add_u32 v24, v26, 2, v21
	ds_read_b32 v22, v24
	v_add_u32_e32 v26, v26, v29
	v_cndmask_b32_e64 v21, v23, v29, s[6:7]
	v_cndmask_b32_e64 v25, v25, v28, s[6:7]
	v_mov_b32_e32 v23, v26
	s_waitcnt lgkmcnt(0)
	v_cmp_gt_f32_e64 s[8:9], v2, v22
	s_and_saveexec_b64 s[10:11], s[8:9]
; %bb.15:                               ;   in Loop: Header=BB0_6 Depth=1
	v_cndmask_b32_e64 v19, v28, v19, s[6:7]
	v_cndmask_b32_e64 v23, v29, v20, s[6:7]
	v_mov_b32_e32 v27, 4
	v_mov_b32_e32 v21, v26
	;; [unrolled: 1-line block ×4, first 2 shown]
; %bb.16:                               ;   in Loop: Header=BB0_6 Depth=1
	s_or_b64 exec, exec, s[10:11]
	v_lshl_add_u32 v19, v27, 2, v24
	ds_read_b32 v28, v19
	v_add_u32_e32 v29, v27, v26
	v_mov_b32_e32 v27, -1
	s_waitcnt lgkmcnt(0)
	v_cmp_gt_f32_e64 s[6:7], v2, v28
	v_cndmask_b32_e64 v26, -2, 2, s[6:7]
	v_lshl_add_u32 v19, v26, 2, v19
	ds_read_b32 v20, v19
	v_add_u32_e32 v26, v26, v29
	v_cndmask_b32_e64 v24, v21, v29, s[6:7]
	v_cndmask_b32_e64 v25, v25, v28, s[6:7]
	v_mov_b32_e32 v21, v26
	s_waitcnt lgkmcnt(0)
	v_cmp_gt_f32_e64 s[8:9], v2, v20
	s_and_saveexec_b64 s[10:11], s[8:9]
; %bb.17:                               ;   in Loop: Header=BB0_6 Depth=1
	v_cndmask_b32_e64 v22, v28, v22, s[6:7]
	v_cndmask_b32_e64 v21, v29, v23, s[6:7]
	v_mov_b32_e32 v27, 1
	v_mov_b32_e32 v24, v26
	;; [unrolled: 1-line block ×4, first 2 shown]
; %bb.18:                               ;   in Loop: Header=BB0_6 Depth=1
	s_or_b64 exec, exec, s[10:11]
	v_lshl_add_u32 v19, v27, 2, v19
	ds_read_b32 v23, v19
	v_add_u32_e32 v22, v27, v26
                                        ; implicit-def: $vgpr19
	s_waitcnt lgkmcnt(0)
	v_cmp_ngt_f32_e64 s[6:7], v2, v23
	s_and_saveexec_b64 s[8:9], s[6:7]
	s_xor_b64 s[8:9], exec, s[8:9]
; %bb.19:                               ;   in Loop: Header=BB0_6 Depth=1
	v_cmp_eq_u32_e64 s[6:7], 0, v24
	v_cndmask_b32_e64 v19, v25, v10, s[6:7]
	v_add_f32_e32 v19, v23, v19
	v_mul_f32_e32 v19, 0.5, v19
	v_cmp_lt_f32_e64 s[6:7], v2, v19
	v_cndmask_b32_e64 v19, v22, v24, s[6:7]
                                        ; implicit-def: $vgpr21
                                        ; implicit-def: $vgpr20
                                        ; implicit-def: $vgpr23
                                        ; implicit-def: $vgpr22
; %bb.20:                               ;   in Loop: Header=BB0_6 Depth=1
	s_andn2_saveexec_b64 s[8:9], s[8:9]
; %bb.21:                               ;   in Loop: Header=BB0_6 Depth=1
	v_cmp_eq_u32_e64 s[6:7], s13, v21
	v_cndmask_b32_e64 v19, v20, v18, s[6:7]
	v_add_f32_e32 v19, v23, v19
	v_mul_f32_e32 v19, 0.5, v19
	v_cmp_gt_f32_e64 s[6:7], v2, v19
	v_cndmask_b32_e64 v19, v22, v21, s[6:7]
; %bb.22:                               ;   in Loop: Header=BB0_6 Depth=1
	s_or_b64 exec, exec, s[8:9]
	v_cmp_gt_f32_e64 s[6:7], v3, v11
	v_cndmask_b32_e64 v26, 63, v15, s[6:7]
	v_lshlrev_b32_e32 v20, 2, v26
	ds_read_b32 v27, v20
	v_cndmask_b32_e64 v21, 0, v0, s[6:7]
	v_cndmask_b32_e64 v25, -1.0, v11, s[6:7]
	v_mov_b32_e32 v24, -16
	s_waitcnt lgkmcnt(0)
	v_cmp_gt_f32_e64 s[8:9], v3, v27
	v_cndmask_b32_e64 v28, v16, 32, s[8:9]
	v_lshl_add_u32 v23, v28, 2, v20
	ds_read_b32 v20, v23
	v_add_u32_e32 v28, v28, v26
	v_cndmask_b32_e64 v22, v21, v26, s[8:9]
	v_cndmask_b32_e64 v25, v25, v27, s[8:9]
	v_mov_b32_e32 v21, v28
	s_waitcnt lgkmcnt(0)
	v_cmp_gt_f32_e64 s[10:11], v3, v20
	s_and_saveexec_b64 s[18:19], s[10:11]
; %bb.23:                               ;   in Loop: Header=BB0_6 Depth=1
	v_cndmask_b32_e64 v21, v0, v17, s[6:7]
	v_cndmask_b32_e64 v22, v11, 1.0, s[6:7]
	v_cndmask_b32_e64 v21, v26, v21, s[8:9]
	v_cndmask_b32_e64 v26, v27, v22, s[8:9]
	v_mov_b32_e32 v24, 16
	v_mov_b32_e32 v22, v28
	;; [unrolled: 1-line block ×4, first 2 shown]
; %bb.24:                               ;   in Loop: Header=BB0_6 Depth=1
	s_or_b64 exec, exec, s[18:19]
	v_lshl_add_u32 v23, v24, 2, v23
	ds_read_b32 v29, v23
	v_add_u32_e32 v30, v24, v28
	v_mov_b32_e32 v28, -4
	s_waitcnt lgkmcnt(0)
	v_cmp_gt_f32_e64 s[6:7], v3, v29
	v_cndmask_b32_e64 v24, -8, 8, s[6:7]
	v_lshl_add_u32 v27, v24, 2, v23
	ds_read_b32 v23, v27
	v_cndmask_b32_e64 v26, v25, v29, s[6:7]
	v_add_u32_e32 v25, v24, v30
	v_cndmask_b32_e64 v22, v22, v30, s[6:7]
	v_mov_b32_e32 v24, v25
	s_waitcnt lgkmcnt(0)
	v_cmp_gt_f32_e64 s[8:9], v3, v23
	s_and_saveexec_b64 s[10:11], s[8:9]
; %bb.25:                               ;   in Loop: Header=BB0_6 Depth=1
	v_cndmask_b32_e64 v20, v29, v20, s[6:7]
	v_cndmask_b32_e64 v24, v30, v21, s[6:7]
	v_mov_b32_e32 v28, 4
	v_mov_b32_e32 v22, v25
	;; [unrolled: 1-line block ×4, first 2 shown]
; %bb.26:                               ;   in Loop: Header=BB0_6 Depth=1
	s_or_b64 exec, exec, s[10:11]
	v_lshl_add_u32 v20, v28, 2, v27
	ds_read_b32 v29, v20
	v_add_u32_e32 v30, v28, v25
	v_mov_b32_e32 v28, -1
	s_waitcnt lgkmcnt(0)
	v_cmp_gt_f32_e64 s[6:7], v3, v29
	v_cndmask_b32_e64 v27, -2, 2, s[6:7]
	v_lshl_add_u32 v20, v27, 2, v20
	ds_read_b32 v21, v20
	v_add_u32_e32 v27, v27, v30
	v_cndmask_b32_e64 v25, v22, v30, s[6:7]
	v_cndmask_b32_e64 v26, v26, v29, s[6:7]
	v_mov_b32_e32 v22, v27
	s_waitcnt lgkmcnt(0)
	v_cmp_gt_f32_e64 s[8:9], v3, v21
	s_and_saveexec_b64 s[10:11], s[8:9]
; %bb.27:                               ;   in Loop: Header=BB0_6 Depth=1
	v_cndmask_b32_e64 v23, v29, v23, s[6:7]
	v_cndmask_b32_e64 v22, v30, v24, s[6:7]
	v_mov_b32_e32 v28, 1
	v_mov_b32_e32 v25, v27
	;; [unrolled: 1-line block ×4, first 2 shown]
; %bb.28:                               ;   in Loop: Header=BB0_6 Depth=1
	s_or_b64 exec, exec, s[10:11]
	v_lshl_add_u32 v20, v28, 2, v20
	ds_read_b32 v24, v20
	v_add_u32_e32 v23, v28, v27
                                        ; implicit-def: $vgpr20
	s_waitcnt lgkmcnt(0)
	v_cmp_ngt_f32_e64 s[6:7], v3, v24
	s_and_saveexec_b64 s[8:9], s[6:7]
	s_xor_b64 s[8:9], exec, s[8:9]
; %bb.29:                               ;   in Loop: Header=BB0_6 Depth=1
	v_cmp_eq_u32_e64 s[6:7], 0, v25
	v_cndmask_b32_e64 v20, v26, v10, s[6:7]
	v_add_f32_e32 v20, v24, v20
	v_mul_f32_e32 v20, 0.5, v20
	v_cmp_lt_f32_e64 s[6:7], v3, v20
	v_cndmask_b32_e64 v20, v23, v25, s[6:7]
                                        ; implicit-def: $vgpr22
                                        ; implicit-def: $vgpr21
                                        ; implicit-def: $vgpr24
                                        ; implicit-def: $vgpr23
; %bb.30:                               ;   in Loop: Header=BB0_6 Depth=1
	s_andn2_saveexec_b64 s[8:9], s[8:9]
; %bb.31:                               ;   in Loop: Header=BB0_6 Depth=1
	v_cmp_eq_u32_e64 s[6:7], s13, v22
	v_cndmask_b32_e64 v20, v21, v18, s[6:7]
	v_add_f32_e32 v20, v24, v20
	v_mul_f32_e32 v20, 0.5, v20
	v_cmp_gt_f32_e64 s[6:7], v3, v20
	v_cndmask_b32_e64 v20, v23, v22, s[6:7]
; %bb.32:                               ;   in Loop: Header=BB0_6 Depth=1
	s_or_b64 exec, exec, s[8:9]
	v_cmp_gt_f32_e64 s[6:7], v4, v11
	v_cndmask_b32_e64 v27, 63, v15, s[6:7]
	v_lshlrev_b32_e32 v21, 2, v27
	ds_read_b32 v28, v21
	v_cndmask_b32_e64 v22, 0, v0, s[6:7]
	v_cndmask_b32_e64 v26, -1.0, v11, s[6:7]
	v_mov_b32_e32 v25, -16
	s_waitcnt lgkmcnt(0)
	v_cmp_gt_f32_e64 s[8:9], v4, v28
	v_cndmask_b32_e64 v29, v16, 32, s[8:9]
	v_lshl_add_u32 v24, v29, 2, v21
	ds_read_b32 v21, v24
	v_add_u32_e32 v29, v29, v27
	v_cndmask_b32_e64 v23, v22, v27, s[8:9]
	v_cndmask_b32_e64 v26, v26, v28, s[8:9]
	v_mov_b32_e32 v22, v29
	s_waitcnt lgkmcnt(0)
	v_cmp_gt_f32_e64 s[10:11], v4, v21
	s_and_saveexec_b64 s[18:19], s[10:11]
; %bb.33:                               ;   in Loop: Header=BB0_6 Depth=1
	v_cndmask_b32_e64 v22, v0, v17, s[6:7]
	v_cndmask_b32_e64 v23, v11, 1.0, s[6:7]
	v_cndmask_b32_e64 v22, v27, v22, s[8:9]
	v_cndmask_b32_e64 v27, v28, v23, s[8:9]
	v_mov_b32_e32 v25, 16
	v_mov_b32_e32 v23, v29
	;; [unrolled: 1-line block ×4, first 2 shown]
; %bb.34:                               ;   in Loop: Header=BB0_6 Depth=1
	s_or_b64 exec, exec, s[18:19]
	v_lshl_add_u32 v24, v25, 2, v24
	ds_read_b32 v30, v24
	v_add_u32_e32 v31, v25, v29
	v_mov_b32_e32 v29, -4
	s_waitcnt lgkmcnt(0)
	v_cmp_gt_f32_e64 s[6:7], v4, v30
	v_cndmask_b32_e64 v25, -8, 8, s[6:7]
	v_lshl_add_u32 v28, v25, 2, v24
	ds_read_b32 v24, v28
	v_cndmask_b32_e64 v27, v26, v30, s[6:7]
	v_add_u32_e32 v26, v25, v31
	v_cndmask_b32_e64 v23, v23, v31, s[6:7]
	v_mov_b32_e32 v25, v26
	s_waitcnt lgkmcnt(0)
	v_cmp_gt_f32_e64 s[8:9], v4, v24
	s_and_saveexec_b64 s[10:11], s[8:9]
; %bb.35:                               ;   in Loop: Header=BB0_6 Depth=1
	v_cndmask_b32_e64 v21, v30, v21, s[6:7]
	v_cndmask_b32_e64 v25, v31, v22, s[6:7]
	v_mov_b32_e32 v29, 4
	v_mov_b32_e32 v23, v26
	;; [unrolled: 1-line block ×4, first 2 shown]
; %bb.36:                               ;   in Loop: Header=BB0_6 Depth=1
	s_or_b64 exec, exec, s[10:11]
	v_lshl_add_u32 v21, v29, 2, v28
	ds_read_b32 v30, v21
	v_add_u32_e32 v31, v29, v26
	v_mov_b32_e32 v29, -1
	s_waitcnt lgkmcnt(0)
	v_cmp_gt_f32_e64 s[6:7], v4, v30
	v_cndmask_b32_e64 v28, -2, 2, s[6:7]
	v_lshl_add_u32 v21, v28, 2, v21
	ds_read_b32 v22, v21
	v_add_u32_e32 v28, v28, v31
	v_cndmask_b32_e64 v26, v23, v31, s[6:7]
	v_cndmask_b32_e64 v27, v27, v30, s[6:7]
	v_mov_b32_e32 v23, v28
	s_waitcnt lgkmcnt(0)
	v_cmp_gt_f32_e64 s[8:9], v4, v22
	s_and_saveexec_b64 s[10:11], s[8:9]
; %bb.37:                               ;   in Loop: Header=BB0_6 Depth=1
	v_cndmask_b32_e64 v24, v30, v24, s[6:7]
	v_cndmask_b32_e64 v23, v31, v25, s[6:7]
	v_mov_b32_e32 v29, 1
	v_mov_b32_e32 v26, v28
	;; [unrolled: 1-line block ×4, first 2 shown]
; %bb.38:                               ;   in Loop: Header=BB0_6 Depth=1
	s_or_b64 exec, exec, s[10:11]
	v_lshl_add_u32 v21, v29, 2, v21
	ds_read_b32 v25, v21
	v_add_u32_e32 v24, v29, v28
                                        ; implicit-def: $vgpr21
	s_waitcnt lgkmcnt(0)
	v_cmp_ngt_f32_e64 s[6:7], v4, v25
	s_and_saveexec_b64 s[8:9], s[6:7]
	s_xor_b64 s[8:9], exec, s[8:9]
; %bb.39:                               ;   in Loop: Header=BB0_6 Depth=1
	v_cmp_eq_u32_e64 s[6:7], 0, v26
	v_cndmask_b32_e64 v21, v27, v10, s[6:7]
	v_add_f32_e32 v21, v25, v21
	v_mul_f32_e32 v21, 0.5, v21
	v_cmp_lt_f32_e64 s[6:7], v4, v21
	v_cndmask_b32_e64 v21, v24, v26, s[6:7]
                                        ; implicit-def: $vgpr23
                                        ; implicit-def: $vgpr22
                                        ; implicit-def: $vgpr25
                                        ; implicit-def: $vgpr24
; %bb.40:                               ;   in Loop: Header=BB0_6 Depth=1
	s_andn2_saveexec_b64 s[8:9], s[8:9]
; %bb.41:                               ;   in Loop: Header=BB0_6 Depth=1
	v_cmp_eq_u32_e64 s[6:7], s13, v23
	v_cndmask_b32_e64 v21, v22, v18, s[6:7]
	v_add_f32_e32 v21, v25, v21
	v_mul_f32_e32 v21, 0.5, v21
	v_cmp_gt_f32_e64 s[6:7], v4, v21
	v_cndmask_b32_e64 v21, v24, v23, s[6:7]
; %bb.42:                               ;   in Loop: Header=BB0_6 Depth=1
	s_or_b64 exec, exec, s[8:9]
	v_cmp_gt_f32_e64 s[6:7], v5, v11
	v_cndmask_b32_e64 v28, 63, v15, s[6:7]
	v_lshlrev_b32_e32 v22, 2, v28
	ds_read_b32 v29, v22
	v_cndmask_b32_e64 v23, 0, v0, s[6:7]
	v_cndmask_b32_e64 v27, -1.0, v11, s[6:7]
	v_mov_b32_e32 v26, -16
	s_waitcnt lgkmcnt(0)
	v_cmp_gt_f32_e64 s[8:9], v5, v29
	v_cndmask_b32_e64 v30, v16, 32, s[8:9]
	v_lshl_add_u32 v25, v30, 2, v22
	ds_read_b32 v22, v25
	v_add_u32_e32 v30, v30, v28
	v_cndmask_b32_e64 v24, v23, v28, s[8:9]
	v_cndmask_b32_e64 v27, v27, v29, s[8:9]
	v_mov_b32_e32 v23, v30
	s_waitcnt lgkmcnt(0)
	v_cmp_gt_f32_e64 s[10:11], v5, v22
	s_and_saveexec_b64 s[18:19], s[10:11]
; %bb.43:                               ;   in Loop: Header=BB0_6 Depth=1
	v_cndmask_b32_e64 v11, v11, 1.0, s[6:7]
	v_cndmask_b32_e64 v23, v0, v17, s[6:7]
	v_cndmask_b32_e64 v11, v29, v11, s[8:9]
	;; [unrolled: 1-line block ×3, first 2 shown]
	v_mov_b32_e32 v26, 16
	v_mov_b32_e32 v24, v30
	;; [unrolled: 1-line block ×4, first 2 shown]
; %bb.44:                               ;   in Loop: Header=BB0_6 Depth=1
	s_or_b64 exec, exec, s[18:19]
	v_lshl_add_u32 v11, v26, 2, v25
	ds_read_b32 v31, v11
	v_add_u32_e32 v30, v26, v30
	v_mov_b32_e32 v29, -4
	s_waitcnt lgkmcnt(0)
	v_cmp_gt_f32_e64 s[6:7], v5, v31
	v_cndmask_b32_e64 v32, -8, 8, s[6:7]
	v_lshl_add_u32 v28, v32, 2, v11
	ds_read_b32 v11, v28
	v_cndmask_b32_e64 v26, v27, v31, s[6:7]
	v_add_u32_e32 v27, v32, v30
	v_cndmask_b32_e64 v25, v24, v30, s[6:7]
	v_mov_b32_e32 v24, v27
	s_waitcnt lgkmcnt(0)
	v_cmp_gt_f32_e64 s[8:9], v5, v11
	s_and_saveexec_b64 s[10:11], s[8:9]
; %bb.45:                               ;   in Loop: Header=BB0_6 Depth=1
	v_cndmask_b32_e64 v22, v31, v22, s[6:7]
	v_cndmask_b32_e64 v24, v30, v23, s[6:7]
	v_mov_b32_e32 v29, 4
	v_mov_b32_e32 v25, v27
	;; [unrolled: 1-line block ×4, first 2 shown]
; %bb.46:                               ;   in Loop: Header=BB0_6 Depth=1
	s_or_b64 exec, exec, s[10:11]
	v_lshl_add_u32 v22, v29, 2, v28
	ds_read_b32 v30, v22
	v_add_u32_e32 v31, v29, v27
	v_mov_b32_e32 v29, -1
	s_waitcnt lgkmcnt(0)
	v_cmp_gt_f32_e64 s[6:7], v5, v30
	v_cndmask_b32_e64 v23, -2, 2, s[6:7]
	v_lshl_add_u32 v27, v23, 2, v22
	ds_read_b32 v22, v27
	v_add_u32_e32 v28, v23, v31
	v_cndmask_b32_e64 v25, v25, v31, s[6:7]
	v_cndmask_b32_e64 v26, v26, v30, s[6:7]
	v_mov_b32_e32 v23, v28
	s_waitcnt lgkmcnt(0)
	v_cmp_gt_f32_e64 s[8:9], v5, v22
	s_and_saveexec_b64 s[10:11], s[8:9]
; %bb.47:                               ;   in Loop: Header=BB0_6 Depth=1
	v_cndmask_b32_e64 v11, v30, v11, s[6:7]
	v_cndmask_b32_e64 v23, v31, v24, s[6:7]
	v_mov_b32_e32 v29, 1
	v_mov_b32_e32 v25, v28
	;; [unrolled: 1-line block ×4, first 2 shown]
; %bb.48:                               ;   in Loop: Header=BB0_6 Depth=1
	s_or_b64 exec, exec, s[10:11]
	v_lshl_add_u32 v11, v29, 2, v27
	ds_read_b32 v27, v11
	v_add_u32_e32 v24, v29, v28
                                        ; implicit-def: $vgpr11
	s_waitcnt lgkmcnt(0)
	v_cmp_ngt_f32_e64 s[6:7], v5, v27
	s_and_saveexec_b64 s[8:9], s[6:7]
	s_xor_b64 s[8:9], exec, s[8:9]
	s_cbranch_execnz .LBB0_56
; %bb.49:                               ;   in Loop: Header=BB0_6 Depth=1
	s_andn2_saveexec_b64 s[8:9], s[8:9]
	s_cbranch_execnz .LBB0_57
.LBB0_50:                               ;   in Loop: Header=BB0_6 Depth=1
	s_or_b64 exec, exec, s[8:9]
	s_and_saveexec_b64 s[6:7], vcc
	s_xor_b64 s[6:7], exec, s[6:7]
	s_cbranch_execnz .LBB0_58
.LBB0_51:                               ;   in Loop: Header=BB0_6 Depth=1
	s_or_b64 exec, exec, s[6:7]
	s_and_saveexec_b64 s[6:7], s[0:1]
	s_cbranch_execnz .LBB0_59
.LBB0_52:                               ;   in Loop: Header=BB0_6 Depth=1
	s_or_b64 exec, exec, s[6:7]
	s_and_saveexec_b64 s[0:1], s[2:3]
	s_cbranch_execnz .LBB0_60
.LBB0_53:                               ;   in Loop: Header=BB0_6 Depth=1
	s_or_b64 exec, exec, s[0:1]
	s_and_saveexec_b64 s[0:1], s[4:5]
	s_cbranch_execz .LBB0_5
	s_branch .LBB0_61
.LBB0_54:                               ;   in Loop: Header=BB0_6 Depth=1
	global_load_dword v3, v[6:7], off offset:-4
	s_or_b64 exec, exec, s[2:3]
	v_cmp_gt_i32_e64 s[2:3], s6, v13
	s_and_saveexec_b64 s[4:5], s[2:3]
	s_cbranch_execz .LBB0_10
.LBB0_55:                               ;   in Loop: Header=BB0_6 Depth=1
	global_load_dword v4, v[6:7], off
	s_or_b64 exec, exec, s[4:5]
	v_cmp_gt_i32_e64 s[4:5], s6, v14
	s_and_saveexec_b64 s[6:7], s[4:5]
	s_cbranch_execnz .LBB0_11
	s_branch .LBB0_12
.LBB0_56:                               ;   in Loop: Header=BB0_6 Depth=1
	v_cmp_eq_u32_e64 s[6:7], 0, v25
	v_cndmask_b32_e64 v10, v26, v10, s[6:7]
	v_add_f32_e32 v10, v27, v10
	v_mul_f32_e32 v10, 0.5, v10
	v_cmp_lt_f32_e64 s[6:7], v5, v10
	v_cndmask_b32_e64 v11, v24, v25, s[6:7]
                                        ; implicit-def: $vgpr23
                                        ; implicit-def: $vgpr22
                                        ; implicit-def: $vgpr18
                                        ; implicit-def: $vgpr27
                                        ; implicit-def: $vgpr24
	s_andn2_saveexec_b64 s[8:9], s[8:9]
	s_cbranch_execz .LBB0_50
.LBB0_57:                               ;   in Loop: Header=BB0_6 Depth=1
	v_cmp_eq_u32_e64 s[6:7], s13, v23
	v_cndmask_b32_e64 v10, v22, v18, s[6:7]
	v_add_f32_e32 v10, v27, v10
	v_mul_f32_e32 v10, 0.5, v10
	v_cmp_gt_f32_e64 s[6:7], v5, v10
	v_cndmask_b32_e64 v11, v24, v23, s[6:7]
	s_or_b64 exec, exec, s[8:9]
	s_and_saveexec_b64 s[6:7], vcc
	s_xor_b64 s[6:7], exec, s[6:7]
	s_cbranch_execz .LBB0_51
.LBB0_58:                               ;   in Loop: Header=BB0_6 Depth=1
	global_store_byte v[8:9], v19, off offset:-1
	s_or_b64 exec, exec, s[6:7]
	s_and_saveexec_b64 s[6:7], s[0:1]
	s_cbranch_execz .LBB0_52
.LBB0_59:                               ;   in Loop: Header=BB0_6 Depth=1
	global_store_byte v[8:9], v20, off
	s_or_b64 exec, exec, s[6:7]
	s_and_saveexec_b64 s[0:1], s[2:3]
	s_cbranch_execz .LBB0_53
.LBB0_60:                               ;   in Loop: Header=BB0_6 Depth=1
	global_store_byte v[8:9], v21, off offset:1
	s_or_b64 exec, exec, s[0:1]
	s_and_saveexec_b64 s[0:1], s[4:5]
	s_cbranch_execz .LBB0_5
.LBB0_61:                               ;   in Loop: Header=BB0_6 Depth=1
	global_store_byte v[8:9], v11, off offset:2
	s_branch .LBB0_5
.LBB0_62:
	s_endpgm
	.section	.rodata,"a",@progbits
	.p2align	6, 0x0
	.amdhsa_kernel _Z9kQuantizeILi256ELi256EEvPKfS1_Phi
		.amdhsa_group_segment_fixed_size 1024
		.amdhsa_private_segment_fixed_size 0
		.amdhsa_kernarg_size 288
		.amdhsa_user_sgpr_count 6
		.amdhsa_user_sgpr_private_segment_buffer 1
		.amdhsa_user_sgpr_dispatch_ptr 0
		.amdhsa_user_sgpr_queue_ptr 0
		.amdhsa_user_sgpr_kernarg_segment_ptr 1
		.amdhsa_user_sgpr_dispatch_id 0
		.amdhsa_user_sgpr_flat_scratch_init 0
		.amdhsa_user_sgpr_private_segment_size 0
		.amdhsa_uses_dynamic_stack 0
		.amdhsa_system_sgpr_private_segment_wavefront_offset 0
		.amdhsa_system_sgpr_workgroup_id_x 1
		.amdhsa_system_sgpr_workgroup_id_y 0
		.amdhsa_system_sgpr_workgroup_id_z 0
		.amdhsa_system_sgpr_workgroup_info 0
		.amdhsa_system_vgpr_workitem_id 0
		.amdhsa_next_free_vgpr 33
		.amdhsa_next_free_sgpr 22
		.amdhsa_reserve_vcc 1
		.amdhsa_reserve_flat_scratch 0
		.amdhsa_float_round_mode_32 0
		.amdhsa_float_round_mode_16_64 0
		.amdhsa_float_denorm_mode_32 3
		.amdhsa_float_denorm_mode_16_64 3
		.amdhsa_dx10_clamp 1
		.amdhsa_ieee_mode 1
		.amdhsa_fp16_overflow 0
		.amdhsa_exception_fp_ieee_invalid_op 0
		.amdhsa_exception_fp_denorm_src 0
		.amdhsa_exception_fp_ieee_div_zero 0
		.amdhsa_exception_fp_ieee_overflow 0
		.amdhsa_exception_fp_ieee_underflow 0
		.amdhsa_exception_fp_ieee_inexact 0
		.amdhsa_exception_int_div_zero 0
	.end_amdhsa_kernel
	.section	.text._Z9kQuantizeILi256ELi256EEvPKfS1_Phi,"axG",@progbits,_Z9kQuantizeILi256ELi256EEvPKfS1_Phi,comdat
.Lfunc_end0:
	.size	_Z9kQuantizeILi256ELi256EEvPKfS1_Phi, .Lfunc_end0-_Z9kQuantizeILi256ELi256EEvPKfS1_Phi
                                        ; -- End function
	.set _Z9kQuantizeILi256ELi256EEvPKfS1_Phi.num_vgpr, 33
	.set _Z9kQuantizeILi256ELi256EEvPKfS1_Phi.num_agpr, 0
	.set _Z9kQuantizeILi256ELi256EEvPKfS1_Phi.numbered_sgpr, 22
	.set _Z9kQuantizeILi256ELi256EEvPKfS1_Phi.num_named_barrier, 0
	.set _Z9kQuantizeILi256ELi256EEvPKfS1_Phi.private_seg_size, 0
	.set _Z9kQuantizeILi256ELi256EEvPKfS1_Phi.uses_vcc, 1
	.set _Z9kQuantizeILi256ELi256EEvPKfS1_Phi.uses_flat_scratch, 0
	.set _Z9kQuantizeILi256ELi256EEvPKfS1_Phi.has_dyn_sized_stack, 0
	.set _Z9kQuantizeILi256ELi256EEvPKfS1_Phi.has_recursion, 0
	.set _Z9kQuantizeILi256ELi256EEvPKfS1_Phi.has_indirect_call, 0
	.section	.AMDGPU.csdata,"",@progbits
; Kernel info:
; codeLenInByte = 3056
; TotalNumSgprs: 26
; NumVgprs: 33
; ScratchSize: 0
; MemoryBound: 0
; FloatMode: 240
; IeeeMode: 1
; LDSByteSize: 1024 bytes/workgroup (compile time only)
; SGPRBlocks: 3
; VGPRBlocks: 8
; NumSGPRsForWavesPerEU: 26
; NumVGPRsForWavesPerEU: 33
; Occupancy: 7
; WaveLimiterHint : 0
; COMPUTE_PGM_RSRC2:SCRATCH_EN: 0
; COMPUTE_PGM_RSRC2:USER_SGPR: 6
; COMPUTE_PGM_RSRC2:TRAP_HANDLER: 0
; COMPUTE_PGM_RSRC2:TGID_X_EN: 1
; COMPUTE_PGM_RSRC2:TGID_Y_EN: 0
; COMPUTE_PGM_RSRC2:TGID_Z_EN: 0
; COMPUTE_PGM_RSRC2:TIDIG_COMP_CNT: 0
	.section	.AMDGPU.gpr_maximums,"",@progbits
	.set amdgpu.max_num_vgpr, 0
	.set amdgpu.max_num_agpr, 0
	.set amdgpu.max_num_sgpr, 0
	.section	.AMDGPU.csdata,"",@progbits
	.type	__hip_cuid_7963b00564b531ff,@object ; @__hip_cuid_7963b00564b531ff
	.section	.bss,"aw",@nobits
	.globl	__hip_cuid_7963b00564b531ff
__hip_cuid_7963b00564b531ff:
	.byte	0                               ; 0x0
	.size	__hip_cuid_7963b00564b531ff, 1

	.ident	"AMD clang version 22.0.0git (https://github.com/RadeonOpenCompute/llvm-project roc-7.2.4 26084 f58b06dce1f9c15707c5f808fd002e18c2accf7e)"
	.section	".note.GNU-stack","",@progbits
	.addrsig
	.addrsig_sym __hip_cuid_7963b00564b531ff
	.amdgpu_metadata
---
amdhsa.kernels:
  - .args:
      - .actual_access:  read_only
        .address_space:  global
        .offset:         0
        .size:           8
        .value_kind:     global_buffer
      - .actual_access:  read_only
        .address_space:  global
        .offset:         8
        .size:           8
        .value_kind:     global_buffer
      - .address_space:  global
        .offset:         16
        .size:           8
        .value_kind:     global_buffer
      - .offset:         24
        .size:           4
        .value_kind:     by_value
      - .offset:         32
        .size:           4
        .value_kind:     hidden_block_count_x
      - .offset:         36
        .size:           4
        .value_kind:     hidden_block_count_y
      - .offset:         40
        .size:           4
        .value_kind:     hidden_block_count_z
      - .offset:         44
        .size:           2
        .value_kind:     hidden_group_size_x
      - .offset:         46
        .size:           2
        .value_kind:     hidden_group_size_y
      - .offset:         48
        .size:           2
        .value_kind:     hidden_group_size_z
      - .offset:         50
        .size:           2
        .value_kind:     hidden_remainder_x
      - .offset:         52
        .size:           2
        .value_kind:     hidden_remainder_y
      - .offset:         54
        .size:           2
        .value_kind:     hidden_remainder_z
      - .offset:         72
        .size:           8
        .value_kind:     hidden_global_offset_x
      - .offset:         80
        .size:           8
        .value_kind:     hidden_global_offset_y
      - .offset:         88
        .size:           8
        .value_kind:     hidden_global_offset_z
      - .offset:         96
        .size:           2
        .value_kind:     hidden_grid_dims
    .group_segment_fixed_size: 1024
    .kernarg_segment_align: 8
    .kernarg_segment_size: 288
    .language:       OpenCL C
    .language_version:
      - 2
      - 0
    .max_flat_workgroup_size: 1024
    .name:           _Z9kQuantizeILi256ELi256EEvPKfS1_Phi
    .private_segment_fixed_size: 0
    .sgpr_count:     26
    .sgpr_spill_count: 0
    .symbol:         _Z9kQuantizeILi256ELi256EEvPKfS1_Phi.kd
    .uniform_work_group_size: 1
    .uses_dynamic_stack: false
    .vgpr_count:     33
    .vgpr_spill_count: 0
    .wavefront_size: 64
amdhsa.target:   amdgcn-amd-amdhsa--gfx906
amdhsa.version:
  - 1
  - 2
...

	.end_amdgpu_metadata
